;; amdgpu-corpus repo=ROCm/rocFFT kind=compiled arch=gfx1030 opt=O3
	.text
	.amdgcn_target "amdgcn-amd-amdhsa--gfx1030"
	.amdhsa_code_object_version 6
	.protected	fft_rtc_back_len528_factors_4_4_3_11_wgs_48_tpt_48_halfLds_sp_op_CI_CI_unitstride_sbrr_C2R_dirReg ; -- Begin function fft_rtc_back_len528_factors_4_4_3_11_wgs_48_tpt_48_halfLds_sp_op_CI_CI_unitstride_sbrr_C2R_dirReg
	.globl	fft_rtc_back_len528_factors_4_4_3_11_wgs_48_tpt_48_halfLds_sp_op_CI_CI_unitstride_sbrr_C2R_dirReg
	.p2align	8
	.type	fft_rtc_back_len528_factors_4_4_3_11_wgs_48_tpt_48_halfLds_sp_op_CI_CI_unitstride_sbrr_C2R_dirReg,@function
fft_rtc_back_len528_factors_4_4_3_11_wgs_48_tpt_48_halfLds_sp_op_CI_CI_unitstride_sbrr_C2R_dirReg: ; @fft_rtc_back_len528_factors_4_4_3_11_wgs_48_tpt_48_halfLds_sp_op_CI_CI_unitstride_sbrr_C2R_dirReg
; %bb.0:
	s_clause 0x2
	s_load_dwordx4 s[12:15], s[4:5], 0x0
	s_load_dwordx4 s[8:11], s[4:5], 0x58
	;; [unrolled: 1-line block ×3, first 2 shown]
	v_mul_u32_u24_e32 v1, 0x556, v0
	v_mov_b32_e32 v3, 0
	v_add_nc_u32_sdwa v5, s6, v1 dst_sel:DWORD dst_unused:UNUSED_PAD src0_sel:DWORD src1_sel:WORD_1
	v_mov_b32_e32 v1, 0
	v_mov_b32_e32 v6, v3
	v_mov_b32_e32 v2, 0
	s_waitcnt lgkmcnt(0)
	v_cmp_lt_u64_e64 s0, s[14:15], 2
	s_and_b32 vcc_lo, exec_lo, s0
	s_cbranch_vccnz .LBB0_8
; %bb.1:
	s_load_dwordx2 s[0:1], s[4:5], 0x10
	v_mov_b32_e32 v1, 0
	v_mov_b32_e32 v2, 0
	s_add_u32 s2, s18, 8
	s_addc_u32 s3, s19, 0
	s_add_u32 s6, s16, 8
	s_addc_u32 s7, s17, 0
	v_mov_b32_e32 v25, v2
	v_mov_b32_e32 v24, v1
	s_mov_b64 s[22:23], 1
	s_waitcnt lgkmcnt(0)
	s_add_u32 s20, s0, 8
	s_addc_u32 s21, s1, 0
.LBB0_2:                                ; =>This Inner Loop Header: Depth=1
	s_load_dwordx2 s[24:25], s[20:21], 0x0
                                        ; implicit-def: $vgpr26_vgpr27
	s_mov_b32 s0, exec_lo
	s_waitcnt lgkmcnt(0)
	v_or_b32_e32 v4, s25, v6
	v_cmpx_ne_u64_e32 0, v[3:4]
	s_xor_b32 s1, exec_lo, s0
	s_cbranch_execz .LBB0_4
; %bb.3:                                ;   in Loop: Header=BB0_2 Depth=1
	v_cvt_f32_u32_e32 v4, s24
	v_cvt_f32_u32_e32 v7, s25
	s_sub_u32 s0, 0, s24
	s_subb_u32 s26, 0, s25
	v_fmac_f32_e32 v4, 0x4f800000, v7
	v_rcp_f32_e32 v4, v4
	v_mul_f32_e32 v4, 0x5f7ffffc, v4
	v_mul_f32_e32 v7, 0x2f800000, v4
	v_trunc_f32_e32 v7, v7
	v_fmac_f32_e32 v4, 0xcf800000, v7
	v_cvt_u32_f32_e32 v7, v7
	v_cvt_u32_f32_e32 v4, v4
	v_mul_lo_u32 v8, s0, v7
	v_mul_hi_u32 v9, s0, v4
	v_mul_lo_u32 v10, s26, v4
	v_add_nc_u32_e32 v8, v9, v8
	v_mul_lo_u32 v9, s0, v4
	v_add_nc_u32_e32 v8, v8, v10
	v_mul_hi_u32 v10, v4, v9
	v_mul_lo_u32 v11, v4, v8
	v_mul_hi_u32 v12, v4, v8
	v_mul_hi_u32 v13, v7, v9
	v_mul_lo_u32 v9, v7, v9
	v_mul_hi_u32 v14, v7, v8
	v_mul_lo_u32 v8, v7, v8
	v_add_co_u32 v10, vcc_lo, v10, v11
	v_add_co_ci_u32_e32 v11, vcc_lo, 0, v12, vcc_lo
	v_add_co_u32 v9, vcc_lo, v10, v9
	v_add_co_ci_u32_e32 v9, vcc_lo, v11, v13, vcc_lo
	v_add_co_ci_u32_e32 v10, vcc_lo, 0, v14, vcc_lo
	v_add_co_u32 v8, vcc_lo, v9, v8
	v_add_co_ci_u32_e32 v9, vcc_lo, 0, v10, vcc_lo
	v_add_co_u32 v4, vcc_lo, v4, v8
	v_add_co_ci_u32_e32 v7, vcc_lo, v7, v9, vcc_lo
	v_mul_hi_u32 v8, s0, v4
	v_mul_lo_u32 v10, s26, v4
	v_mul_lo_u32 v9, s0, v7
	v_add_nc_u32_e32 v8, v8, v9
	v_mul_lo_u32 v9, s0, v4
	v_add_nc_u32_e32 v8, v8, v10
	v_mul_hi_u32 v10, v4, v9
	v_mul_lo_u32 v11, v4, v8
	v_mul_hi_u32 v12, v4, v8
	v_mul_hi_u32 v13, v7, v9
	v_mul_lo_u32 v9, v7, v9
	v_mul_hi_u32 v14, v7, v8
	v_mul_lo_u32 v8, v7, v8
	v_add_co_u32 v10, vcc_lo, v10, v11
	v_add_co_ci_u32_e32 v11, vcc_lo, 0, v12, vcc_lo
	v_add_co_u32 v9, vcc_lo, v10, v9
	v_add_co_ci_u32_e32 v9, vcc_lo, v11, v13, vcc_lo
	v_add_co_ci_u32_e32 v10, vcc_lo, 0, v14, vcc_lo
	v_add_co_u32 v8, vcc_lo, v9, v8
	v_add_co_ci_u32_e32 v9, vcc_lo, 0, v10, vcc_lo
	v_add_co_u32 v4, vcc_lo, v4, v8
	v_add_co_ci_u32_e32 v11, vcc_lo, v7, v9, vcc_lo
	v_mul_hi_u32 v13, v5, v4
	v_mad_u64_u32 v[9:10], null, v6, v4, 0
	v_mad_u64_u32 v[7:8], null, v5, v11, 0
	;; [unrolled: 1-line block ×3, first 2 shown]
	v_add_co_u32 v4, vcc_lo, v13, v7
	v_add_co_ci_u32_e32 v7, vcc_lo, 0, v8, vcc_lo
	v_add_co_u32 v4, vcc_lo, v4, v9
	v_add_co_ci_u32_e32 v4, vcc_lo, v7, v10, vcc_lo
	v_add_co_ci_u32_e32 v7, vcc_lo, 0, v12, vcc_lo
	v_add_co_u32 v4, vcc_lo, v4, v11
	v_add_co_ci_u32_e32 v9, vcc_lo, 0, v7, vcc_lo
	v_mul_lo_u32 v10, s25, v4
	v_mad_u64_u32 v[7:8], null, s24, v4, 0
	v_mul_lo_u32 v11, s24, v9
	v_sub_co_u32 v7, vcc_lo, v5, v7
	v_add3_u32 v8, v8, v11, v10
	v_sub_nc_u32_e32 v10, v6, v8
	v_subrev_co_ci_u32_e64 v10, s0, s25, v10, vcc_lo
	v_add_co_u32 v11, s0, v4, 2
	v_add_co_ci_u32_e64 v12, s0, 0, v9, s0
	v_sub_co_u32 v13, s0, v7, s24
	v_sub_co_ci_u32_e32 v8, vcc_lo, v6, v8, vcc_lo
	v_subrev_co_ci_u32_e64 v10, s0, 0, v10, s0
	v_cmp_le_u32_e32 vcc_lo, s24, v13
	v_cmp_eq_u32_e64 s0, s25, v8
	v_cndmask_b32_e64 v13, 0, -1, vcc_lo
	v_cmp_le_u32_e32 vcc_lo, s25, v10
	v_cndmask_b32_e64 v14, 0, -1, vcc_lo
	v_cmp_le_u32_e32 vcc_lo, s24, v7
	;; [unrolled: 2-line block ×3, first 2 shown]
	v_cndmask_b32_e64 v15, 0, -1, vcc_lo
	v_cmp_eq_u32_e32 vcc_lo, s25, v10
	v_cndmask_b32_e64 v7, v15, v7, s0
	v_cndmask_b32_e32 v10, v14, v13, vcc_lo
	v_add_co_u32 v13, vcc_lo, v4, 1
	v_add_co_ci_u32_e32 v14, vcc_lo, 0, v9, vcc_lo
	v_cmp_ne_u32_e32 vcc_lo, 0, v10
	v_cndmask_b32_e32 v8, v14, v12, vcc_lo
	v_cndmask_b32_e32 v10, v13, v11, vcc_lo
	v_cmp_ne_u32_e32 vcc_lo, 0, v7
	v_cndmask_b32_e32 v27, v9, v8, vcc_lo
	v_cndmask_b32_e32 v26, v4, v10, vcc_lo
.LBB0_4:                                ;   in Loop: Header=BB0_2 Depth=1
	s_andn2_saveexec_b32 s0, s1
	s_cbranch_execz .LBB0_6
; %bb.5:                                ;   in Loop: Header=BB0_2 Depth=1
	v_cvt_f32_u32_e32 v4, s24
	s_sub_i32 s1, 0, s24
	v_mov_b32_e32 v27, v3
	v_rcp_iflag_f32_e32 v4, v4
	v_mul_f32_e32 v4, 0x4f7ffffe, v4
	v_cvt_u32_f32_e32 v4, v4
	v_mul_lo_u32 v7, s1, v4
	v_mul_hi_u32 v7, v4, v7
	v_add_nc_u32_e32 v4, v4, v7
	v_mul_hi_u32 v4, v5, v4
	v_mul_lo_u32 v7, v4, s24
	v_add_nc_u32_e32 v8, 1, v4
	v_sub_nc_u32_e32 v7, v5, v7
	v_subrev_nc_u32_e32 v9, s24, v7
	v_cmp_le_u32_e32 vcc_lo, s24, v7
	v_cndmask_b32_e32 v7, v7, v9, vcc_lo
	v_cndmask_b32_e32 v4, v4, v8, vcc_lo
	v_cmp_le_u32_e32 vcc_lo, s24, v7
	v_add_nc_u32_e32 v8, 1, v4
	v_cndmask_b32_e32 v26, v4, v8, vcc_lo
.LBB0_6:                                ;   in Loop: Header=BB0_2 Depth=1
	s_or_b32 exec_lo, exec_lo, s0
	v_mul_lo_u32 v4, v27, s24
	v_mul_lo_u32 v9, v26, s25
	s_load_dwordx2 s[0:1], s[6:7], 0x0
	v_mad_u64_u32 v[7:8], null, v26, s24, 0
	s_load_dwordx2 s[24:25], s[2:3], 0x0
	s_add_u32 s22, s22, 1
	s_addc_u32 s23, s23, 0
	s_add_u32 s2, s2, 8
	s_addc_u32 s3, s3, 0
	s_add_u32 s6, s6, 8
	v_add3_u32 v4, v8, v9, v4
	v_sub_co_u32 v5, vcc_lo, v5, v7
	s_addc_u32 s7, s7, 0
	s_add_u32 s20, s20, 8
	v_sub_co_ci_u32_e32 v4, vcc_lo, v6, v4, vcc_lo
	s_addc_u32 s21, s21, 0
	s_waitcnt lgkmcnt(0)
	v_mul_lo_u32 v6, s0, v4
	v_mul_lo_u32 v7, s1, v5
	v_mad_u64_u32 v[1:2], null, s0, v5, v[1:2]
	v_mul_lo_u32 v4, s24, v4
	v_mul_lo_u32 v8, s25, v5
	v_mad_u64_u32 v[24:25], null, s24, v5, v[24:25]
	v_cmp_ge_u64_e64 s0, s[22:23], s[14:15]
	v_add3_u32 v2, v7, v2, v6
	v_add3_u32 v25, v8, v25, v4
	s_and_b32 vcc_lo, exec_lo, s0
	s_cbranch_vccnz .LBB0_9
; %bb.7:                                ;   in Loop: Header=BB0_2 Depth=1
	v_mov_b32_e32 v5, v26
	v_mov_b32_e32 v6, v27
	s_branch .LBB0_2
.LBB0_8:
	v_mov_b32_e32 v25, v2
	v_mov_b32_e32 v27, v6
	;; [unrolled: 1-line block ×4, first 2 shown]
.LBB0_9:
	s_load_dwordx2 s[0:1], s[4:5], 0x28
	v_mul_hi_u32 v3, 0x5555556, v0
	s_lshl_b64 s[4:5], s[14:15], 3
                                        ; implicit-def: $vgpr28
	s_add_u32 s2, s18, s4
	s_addc_u32 s3, s19, s5
	s_waitcnt lgkmcnt(0)
	v_cmp_gt_u64_e32 vcc_lo, s[0:1], v[26:27]
	v_cmp_le_u64_e64 s0, s[0:1], v[26:27]
	s_and_saveexec_b32 s1, s0
	s_xor_b32 s0, exec_lo, s1
; %bb.10:
	v_mul_u32_u24_e32 v1, 48, v3
                                        ; implicit-def: $vgpr3
	v_sub_nc_u32_e32 v28, v0, v1
                                        ; implicit-def: $vgpr0
                                        ; implicit-def: $vgpr1_vgpr2
; %bb.11:
	s_or_saveexec_b32 s1, s0
	s_load_dwordx2 s[2:3], s[2:3], 0x0
	s_xor_b32 exec_lo, exec_lo, s1
	s_cbranch_execz .LBB0_15
; %bb.12:
	s_add_u32 s4, s16, s4
	s_addc_u32 s5, s17, s5
	v_lshlrev_b64 v[1:2], 3, v[1:2]
	s_load_dwordx2 s[4:5], s[4:5], 0x0
	s_waitcnt lgkmcnt(0)
	v_mul_lo_u32 v6, s5, v26
	v_mul_lo_u32 v7, s4, v27
	v_mad_u64_u32 v[4:5], null, s4, v26, 0
	s_mov_b32 s4, exec_lo
	v_add3_u32 v5, v5, v7, v6
	v_mul_u32_u24_e32 v6, 48, v3
	v_lshlrev_b64 v[3:4], 3, v[4:5]
	v_sub_nc_u32_e32 v28, v0, v6
	v_lshlrev_b32_e32 v29, 3, v28
	v_add_co_u32 v0, s0, s8, v3
	v_add_co_ci_u32_e64 v3, s0, s9, v4, s0
	v_or_b32_e32 v4, 0xc00, v29
	v_add_co_u32 v0, s0, v0, v1
	v_add_co_ci_u32_e64 v1, s0, v3, v2, s0
	v_add_co_u32 v2, s0, v0, v29
	v_add_co_ci_u32_e64 v3, s0, 0, v1, s0
	;; [unrolled: 2-line block ×4, first 2 shown]
	s_clause 0xa
	global_load_dwordx2 v[8:9], v[2:3], off
	global_load_dwordx2 v[10:11], v[2:3], off offset:384
	global_load_dwordx2 v[12:13], v[2:3], off offset:768
	global_load_dwordx2 v[14:15], v[2:3], off offset:1152
	global_load_dwordx2 v[16:17], v[2:3], off offset:1536
	global_load_dwordx2 v[2:3], v[2:3], off offset:1920
	global_load_dwordx2 v[18:19], v[6:7], off offset:256
	global_load_dwordx2 v[20:21], v[6:7], off offset:640
	global_load_dwordx2 v[22:23], v[6:7], off offset:1408
	global_load_dwordx2 v[4:5], v[4:5], off
	global_load_dwordx2 v[6:7], v[6:7], off offset:1792
	v_add_nc_u32_e32 v29, 0, v29
	v_add_nc_u32_e32 v30, 0x800, v29
	s_waitcnt vmcnt(9)
	ds_write2_b64 v29, v[8:9], v[10:11] offset1:48
	s_waitcnt vmcnt(7)
	ds_write2_b64 v29, v[12:13], v[14:15] offset0:96 offset1:144
	s_waitcnt vmcnt(5)
	ds_write2_b64 v29, v[16:17], v[2:3] offset0:192 offset1:240
	;; [unrolled: 2-line block ×4, first 2 shown]
	s_waitcnt vmcnt(0)
	ds_write_b64 v29, v[6:7] offset:3840
	v_cmpx_eq_u32_e32 47, v28
	s_cbranch_execz .LBB0_14
; %bb.13:
	v_add_co_u32 v0, s0, 0x1000, v0
	v_add_co_ci_u32_e64 v1, s0, 0, v1, s0
	v_mov_b32_e32 v2, 0
	v_mov_b32_e32 v28, 47
	global_load_dwordx2 v[0:1], v[0:1], off offset:128
	s_waitcnt vmcnt(0)
	ds_write_b64 v2, v[0:1] offset:4224
.LBB0_14:
	s_or_b32 exec_lo, exec_lo, s4
.LBB0_15:
	s_or_b32 exec_lo, exec_lo, s1
	v_lshlrev_b32_e32 v0, 3, v28
	s_waitcnt lgkmcnt(0)
	s_barrier
	buffer_gl0_inv
	s_add_u32 s1, s12, 0x1060
	v_add_nc_u32_e32 v33, 0, v0
	v_sub_nc_u32_e32 v4, 0, v0
	s_addc_u32 s4, s13, 0
	s_mov_b32 s5, exec_lo
	ds_read_b32 v1, v33
	ds_read_b32 v2, v4 offset:4224
	s_waitcnt lgkmcnt(0)
	v_add_f32_e32 v0, v2, v1
	v_sub_f32_e32 v1, v1, v2
                                        ; implicit-def: $vgpr2_vgpr3
	v_cmpx_ne_u32_e32 0, v28
	s_xor_b32 s5, exec_lo, s5
	s_cbranch_execz .LBB0_17
; %bb.16:
	v_mov_b32_e32 v29, 0
	v_lshlrev_b64 v[2:3], 3, v[28:29]
	v_add_co_u32 v2, s0, s1, v2
	v_add_co_ci_u32_e64 v3, s0, s4, v3, s0
	global_load_dwordx2 v[2:3], v[2:3], off
	ds_read_b32 v5, v4 offset:4228
	ds_read_b32 v6, v33 offset:4
	s_waitcnt lgkmcnt(0)
	v_add_f32_e32 v9, v5, v6
	v_sub_f32_e32 v5, v6, v5
	s_waitcnt vmcnt(0)
	v_fma_f32 v10, v1, v3, v0
	v_fma_f32 v6, v9, v3, v5
	v_fma_f32 v7, -v1, v3, v0
	v_fma_f32 v8, v9, v3, -v5
                                        ; implicit-def: $vgpr0
	v_fma_f32 v5, -v2, v9, v10
	v_fmac_f32_e32 v6, v1, v2
	v_fmac_f32_e32 v7, v2, v9
	;; [unrolled: 1-line block ×3, first 2 shown]
	v_mov_b32_e32 v2, v28
	v_mov_b32_e32 v3, v29
	ds_write_b64 v33, v[5:6]
	ds_write_b64 v4, v[7:8] offset:4224
.LBB0_17:
	s_andn2_saveexec_b32 s0, s5
	s_cbranch_execz .LBB0_19
; %bb.18:
	v_mov_b32_e32 v5, 0
	ds_write_b64 v33, v[0:1]
	v_mov_b32_e32 v2, 0
	v_mov_b32_e32 v3, 0
	ds_read_b64 v[0:1], v5 offset:2112
	s_waitcnt lgkmcnt(0)
	v_add_f32_e32 v0, v0, v0
	v_mul_f32_e32 v1, -2.0, v1
	ds_write_b64 v5, v[0:1] offset:2112
.LBB0_19:
	s_or_b32 exec_lo, exec_lo, s0
	v_lshlrev_b64 v[0:1], 3, v[2:3]
	v_add_co_u32 v0, s0, s1, v0
	v_add_co_ci_u32_e64 v1, s0, s4, v1, s0
	s_mov_b32 s1, exec_lo
	s_clause 0x3
	global_load_dwordx2 v[2:3], v[0:1], off offset:384
	global_load_dwordx2 v[5:6], v[0:1], off offset:768
	global_load_dwordx2 v[7:8], v[0:1], off offset:1152
	global_load_dwordx2 v[9:10], v[0:1], off offset:1536
	ds_read_b64 v[11:12], v33 offset:384
	ds_read_b64 v[13:14], v4 offset:3840
	s_waitcnt lgkmcnt(0)
	v_add_f32_e32 v15, v11, v13
	v_add_f32_e32 v16, v14, v12
	v_sub_f32_e32 v17, v11, v13
	v_sub_f32_e32 v11, v12, v14
	s_waitcnt vmcnt(3)
	v_fma_f32 v18, v17, v3, v15
	v_fma_f32 v12, v16, v3, v11
	v_fma_f32 v13, -v17, v3, v15
	v_fma_f32 v14, v16, v3, -v11
	v_fma_f32 v11, -v2, v16, v18
	v_fmac_f32_e32 v12, v17, v2
	v_fmac_f32_e32 v13, v2, v16
	v_fmac_f32_e32 v14, v17, v2
	ds_write_b64 v33, v[11:12] offset:384
	ds_write_b64 v4, v[13:14] offset:3840
	ds_read_b64 v[2:3], v33 offset:768
	ds_read_b64 v[11:12], v4 offset:3456
	s_waitcnt lgkmcnt(0)
	v_add_f32_e32 v13, v2, v11
	v_add_f32_e32 v14, v12, v3
	v_sub_f32_e32 v15, v2, v11
	v_sub_f32_e32 v2, v3, v12
	s_waitcnt vmcnt(2)
	v_fma_f32 v16, v15, v6, v13
	v_fma_f32 v3, v14, v6, v2
	v_fma_f32 v11, -v15, v6, v13
	v_fma_f32 v12, v14, v6, -v2
	v_fma_f32 v2, -v5, v14, v16
	v_fmac_f32_e32 v3, v15, v5
	v_fmac_f32_e32 v11, v5, v14
	v_fmac_f32_e32 v12, v15, v5
	ds_write_b64 v33, v[2:3] offset:768
	ds_write_b64 v4, v[11:12] offset:3456
	;; [unrolled: 18-line block ×4, first 2 shown]
	v_cmpx_gt_u32_e32 24, v28
	s_cbranch_execz .LBB0_21
; %bb.20:
	global_load_dwordx2 v[0:1], v[0:1], off offset:1920
	ds_read_b64 v[2:3], v33 offset:1920
	ds_read_b64 v[5:6], v4 offset:2304
	s_waitcnt lgkmcnt(0)
	v_add_f32_e32 v7, v2, v5
	v_add_f32_e32 v8, v6, v3
	v_sub_f32_e32 v9, v2, v5
	v_sub_f32_e32 v3, v3, v6
	s_waitcnt vmcnt(0)
	v_fma_f32 v10, v9, v1, v7
	v_fma_f32 v2, v8, v1, v3
	v_fma_f32 v5, -v9, v1, v7
	v_fma_f32 v6, v8, v1, -v3
	v_fma_f32 v1, -v0, v8, v10
	v_fmac_f32_e32 v2, v9, v0
	v_fmac_f32_e32 v5, v0, v8
	;; [unrolled: 1-line block ×3, first 2 shown]
	ds_write_b64 v33, v[1:2] offset:1920
	ds_write_b64 v4, v[5:6] offset:2304
.LBB0_21:
	s_or_b32 exec_lo, exec_lo, s1
	v_add_nc_u32_e32 v20, 0x800, v33
	s_waitcnt lgkmcnt(0)
	s_barrier
	buffer_gl0_inv
	s_barrier
	buffer_gl0_inv
	ds_read2_b64 v[0:3], v33 offset1:48
	ds_read2_b64 v[4:7], v20 offset0:8 offset1:56
	ds_read2_b64 v[8:11], v33 offset0:96 offset1:132
	;; [unrolled: 1-line block ×5, first 2 shown]
	v_add_nc_u32_e32 v35, 48, v28
	v_add_nc_u32_e32 v34, 0x60, v28
	v_cmp_gt_u32_e64 s0, 36, v28
	s_waitcnt lgkmcnt(0)
	s_barrier
	buffer_gl0_inv
	v_sub_f32_e32 v4, v0, v4
	v_sub_f32_e32 v5, v1, v5
	;; [unrolled: 1-line block ×8, first 2 shown]
	v_fma_f32 v0, v0, 2.0, -v4
	v_fma_f32 v1, v1, 2.0, -v5
	;; [unrolled: 1-line block ×6, first 2 shown]
	v_add_f32_e32 v10, v4, v15
	v_sub_f32_e32 v11, v5, v14
	v_fma_f32 v3, v3, 2.0, -v23
	v_fma_f32 v30, v17, 2.0, -v37
	v_sub_f32_e32 v14, v0, v21
	v_sub_f32_e32 v15, v1, v22
	;; [unrolled: 1-line block ×5, first 2 shown]
	v_fma_f32 v29, v0, 2.0, -v14
	v_fma_f32 v30, v1, 2.0, -v15
	;; [unrolled: 1-line block ×3, first 2 shown]
	v_sub_f32_e32 v2, v8, v12
	v_sub_f32_e32 v0, v18, v31
	;; [unrolled: 1-line block ×3, first 2 shown]
	v_fma_f32 v16, v4, 2.0, -v10
	v_fma_f32 v17, v5, 2.0, -v11
	v_add_f32_e32 v12, v6, v37
	v_fma_f32 v31, v8, 2.0, -v2
	v_fma_f32 v32, v9, 2.0, -v38
	;; [unrolled: 1-line block ×4, first 2 shown]
	v_sub_f32_e32 v13, v23, v7
	v_fma_f32 v8, v6, 2.0, -v12
	v_add_f32_e32 v6, v2, v1
	v_sub_f32_e32 v4, v31, v4
	v_sub_f32_e32 v5, v32, v5
	;; [unrolled: 1-line block ×3, first 2 shown]
	v_fma_f32 v37, v3, 2.0, -v22
	v_fma_f32 v2, v2, 2.0, -v6
	v_fma_f32 v0, v31, 2.0, -v4
	v_fma_f32 v1, v32, 2.0, -v5
	v_fma_f32 v3, v38, 2.0, -v7
	v_mad_u32_u24 v18, v28, 24, v33
	v_fma_f32 v9, v23, 2.0, -v13
	v_lshl_add_u32 v19, v35, 5, 0
	ds_write2_b64 v18, v[29:30], v[16:17] offset1:1
	ds_write2_b64 v18, v[14:15], v[10:11] offset0:2 offset1:3
	ds_write2_b64 v19, v[36:37], v[8:9] offset1:1
	ds_write2_b64 v19, v[21:22], v[12:13] offset0:2 offset1:3
	s_and_saveexec_b32 s1, s0
	s_cbranch_execz .LBB0_23
; %bb.22:
	v_lshl_add_u32 v8, v34, 5, 0
	ds_write2_b64 v8, v[0:1], v[2:3] offset1:1
	ds_write2_b64 v8, v[4:5], v[6:7] offset0:2 offset1:3
.LBB0_23:
	s_or_b32 exec_lo, exec_lo, s1
	s_waitcnt lgkmcnt(0)
	s_barrier
	buffer_gl0_inv
	ds_read2_b64 v[8:11], v33 offset1:48
	ds_read2_b64 v[12:15], v33 offset0:132 offset1:180
	ds_read2_b64 v[16:19], v20 offset0:8 offset1:56
	;; [unrolled: 1-line block ×3, first 2 shown]
	v_lshlrev_b32_e32 v29, 2, v35
	s_and_saveexec_b32 s1, s0
	s_cbranch_execz .LBB0_25
; %bb.24:
	v_add_nc_u32_e32 v4, 0x800, v33
	ds_read2_b64 v[0:3], v33 offset0:96 offset1:228
	ds_read2_b64 v[4:7], v4 offset0:104 offset1:236
.LBB0_25:
	s_or_b32 exec_lo, exec_lo, s1
	v_and_b32_e32 v31, 3, v28
	v_mul_u32_u24_e32 v30, 3, v31
	v_and_or_b32 v29, 0x1f0, v29, v31
	v_lshlrev_b32_e32 v30, 3, v30
	v_lshl_add_u32 v42, v29, 3, 0
	s_clause 0x1
	global_load_dwordx4 v[36:39], v30, s[12:13]
	global_load_dwordx2 v[40:41], v30, s[12:13] offset:16
	v_lshlrev_b32_e32 v30, 2, v28
	s_waitcnt vmcnt(0) lgkmcnt(0)
	s_barrier
	buffer_gl0_inv
	v_and_or_b32 v30, 0xf0, v30, v31
	v_lshl_add_u32 v32, v30, 3, 0
	v_mul_f32_e32 v29, v37, v13
	v_mul_f32_e32 v30, v37, v12
	;; [unrolled: 1-line block ×18, first 2 shown]
	v_fmac_f32_e32 v29, v36, v12
	v_fma_f32 v12, v36, v13, -v30
	v_fmac_f32_e32 v43, v38, v16
	v_fma_f32 v13, v38, v17, -v44
	;; [unrolled: 2-line block ×9, first 2 shown]
	v_sub_f32_e32 v18, v8, v43
	v_sub_f32_e32 v13, v9, v13
	;; [unrolled: 1-line block ×12, first 2 shown]
	v_fma_f32 v21, v8, 2.0, -v18
	v_fma_f32 v36, v9, 2.0, -v13
	;; [unrolled: 1-line block ×8, first 2 shown]
	v_sub_f32_e32 v7, v13, v5
	v_fma_f32 v4, v0, 2.0, -v22
	v_fma_f32 v5, v1, 2.0, -v23
	;; [unrolled: 1-line block ×4, first 2 shown]
	v_add_f32_e32 v29, v22, v20
	v_sub_f32_e32 v30, v23, v3
	v_add_f32_e32 v6, v18, v6
	v_sub_f32_e32 v9, v19, v15
	v_sub_f32_e32 v10, v21, v37
	;; [unrolled: 1-line block ×3, first 2 shown]
	v_add_f32_e32 v8, v16, v17
	v_sub_f32_e32 v14, v38, v40
	v_sub_f32_e32 v15, v39, v41
	v_sub_f32_e32 v2, v4, v0
	v_sub_f32_e32 v3, v5, v1
	v_fma_f32 v0, v22, 2.0, -v29
	v_fma_f32 v1, v23, 2.0, -v30
	;; [unrolled: 1-line block ×10, first 2 shown]
	ds_write2_b64 v32, v[10:11], v[6:7] offset0:8 offset1:12
	ds_write2_b64 v32, v[18:19], v[12:13] offset1:4
	ds_write2_b64 v42, v[20:21], v[16:17] offset1:4
	ds_write2_b64 v42, v[14:15], v[8:9] offset0:8 offset1:12
	s_and_saveexec_b32 s1, s0
	s_cbranch_execz .LBB0_27
; %bb.26:
	v_lshlrev_b32_e32 v6, 2, v34
	v_fma_f32 v5, v5, 2.0, -v3
	v_fma_f32 v4, v4, 2.0, -v2
	v_and_or_b32 v6, 0x3f0, v6, v31
	v_lshl_add_u32 v6, v6, 3, 0
	ds_write2_b64 v6, v[4:5], v[0:1] offset1:4
	ds_write2_b64 v6, v[2:3], v[29:30] offset0:8 offset1:12
.LBB0_27:
	s_or_b32 exec_lo, exec_lo, s1
	v_add_nc_u32_e32 v13, 0x800, v33
	v_add_nc_u32_e32 v12, 0x400, v33
	s_waitcnt lgkmcnt(0)
	s_barrier
	buffer_gl0_inv
	ds_read2_b64 v[8:11], v33 offset1:48
	ds_read2_b64 v[4:7], v33 offset0:96 offset1:176
	ds_read2_b64 v[20:23], v13 offset0:96 offset1:144
	;; [unrolled: 1-line block ×3, first 2 shown]
	ds_read_b64 v[31:32], v33 offset:3584
	v_cmp_gt_u32_e64 s0, 32, v28
	s_and_saveexec_b32 s1, s0
	s_cbranch_execz .LBB0_29
; %bb.28:
	ds_read2_b64 v[0:3], v12 offset0:16 offset1:192
	ds_read_b64 v[29:30], v33 offset:3968
.LBB0_29:
	s_or_b32 exec_lo, exec_lo, s1
	v_and_b32_e32 v36, 15, v28
	v_lshrrev_b32_e32 v37, 4, v28
	v_lshrrev_b32_e32 v35, 4, v35
	;; [unrolled: 1-line block ×3, first 2 shown]
	v_lshlrev_b32_e32 v12, 4, v36
	v_mul_u32_u24_e32 v37, 48, v37
	v_mul_u32_u24_e32 v35, 48, v35
	v_mul_u32_u24_e32 v34, 48, v34
	global_load_dwordx4 v[12:15], v12, s[12:13] offset:96
	v_or_b32_e32 v37, v37, v36
	v_or_b32_e32 v35, v35, v36
	v_or_b32_e32 v34, v34, v36
	s_waitcnt vmcnt(0) lgkmcnt(0)
	s_barrier
	v_lshl_add_u32 v37, v37, 3, 0
	v_lshl_add_u32 v35, v35, 3, 0
	;; [unrolled: 1-line block ×3, first 2 shown]
	buffer_gl0_inv
	v_mul_f32_e32 v38, v13, v7
	v_mul_f32_e32 v39, v13, v6
	;; [unrolled: 1-line block ×12, first 2 shown]
	v_fmac_f32_e32 v38, v12, v6
	v_fma_f32 v6, v12, v7, -v39
	v_fmac_f32_e32 v40, v14, v20
	v_fma_f32 v7, v14, v21, -v41
	;; [unrolled: 2-line block ×6, first 2 shown]
	v_add_f32_e32 v21, v38, v40
	v_add_f32_e32 v31, v6, v7
	;; [unrolled: 1-line block ×7, first 2 shown]
	v_sub_f32_e32 v22, v6, v7
	v_add_f32_e32 v23, v6, v9
	v_sub_f32_e32 v32, v38, v40
	v_fma_f32 v8, -0.5, v21, v8
	v_fma_f32 v9, -0.5, v31, v9
	v_add_f32_e32 v38, v10, v42
	v_sub_f32_e32 v41, v16, v17
	v_add_f32_e32 v43, v11, v16
	v_sub_f32_e32 v42, v42, v44
	v_fma_f32 v10, -0.5, v39, v10
	v_fmac_f32_e32 v11, -0.5, v45
	v_add_f32_e32 v47, v4, v46
	v_sub_f32_e32 v50, v18, v19
	v_add_f32_e32 v51, v5, v18
	v_sub_f32_e32 v46, v46, v48
	v_fma_f32 v4, -0.5, v49, v4
	v_fmac_f32_e32 v5, -0.5, v52
	v_add_f32_e32 v6, v20, v40
	v_add_f32_e32 v7, v23, v7
	v_fmamk_f32 v20, v22, 0xbf5db3d7, v8
	v_fmamk_f32 v21, v32, 0x3f5db3d7, v9
	v_fmac_f32_e32 v8, 0x3f5db3d7, v22
	v_fmac_f32_e32 v9, 0xbf5db3d7, v32
	v_add_f32_e32 v16, v38, v44
	v_add_f32_e32 v17, v43, v17
	v_fmamk_f32 v22, v41, 0xbf5db3d7, v10
	v_fmamk_f32 v23, v42, 0x3f5db3d7, v11
	v_fmac_f32_e32 v10, 0x3f5db3d7, v41
	v_fmac_f32_e32 v11, 0xbf5db3d7, v42
	;; [unrolled: 6-line block ×3, first 2 shown]
	ds_write2_b64 v37, v[6:7], v[20:21] offset1:16
	ds_write_b64 v37, v[8:9] offset:256
	ds_write2_b64 v35, v[16:17], v[22:23] offset1:16
	ds_write_b64 v35, v[10:11] offset:256
	;; [unrolled: 2-line block ×3, first 2 shown]
	s_and_saveexec_b32 s1, s0
	s_cbranch_execz .LBB0_31
; %bb.30:
	v_mul_f32_e32 v4, v3, v13
	v_mul_f32_e32 v5, v2, v13
	;; [unrolled: 1-line block ×4, first 2 shown]
	v_add_nc_u32_e32 v8, 0x90, v28
	v_fmac_f32_e32 v4, v2, v12
	v_fma_f32 v5, v3, v12, -v5
	v_fma_f32 v6, v30, v14, -v6
	v_fmac_f32_e32 v7, v29, v14
	v_lshrrev_b32_e32 v2, 4, v8
	v_add_f32_e32 v3, v5, v6
	v_add_f32_e32 v8, v4, v7
	v_mul_u32_u24_e32 v11, 48, v2
	v_sub_f32_e32 v9, v4, v7
	v_sub_f32_e32 v10, v5, v6
	v_fma_f32 v3, -0.5, v3, v1
	v_fma_f32 v2, -0.5, v8, v0
	v_add_f32_e32 v5, v1, v5
	v_add_f32_e32 v4, v0, v4
	v_or_b32_e32 v8, v11, v36
	v_fmamk_f32 v1, v9, 0x3f5db3d7, v3
	v_fmamk_f32 v0, v10, 0xbf5db3d7, v2
	v_add_f32_e32 v5, v5, v6
	v_add_f32_e32 v4, v4, v7
	v_lshl_add_u32 v6, v8, 3, 0
	v_fmac_f32_e32 v3, 0xbf5db3d7, v9
	v_fmac_f32_e32 v2, 0x3f5db3d7, v10
	ds_write2_b64 v6, v[4:5], v[0:1] offset1:16
	ds_write_b64 v6, v[2:3] offset:256
.LBB0_31:
	s_or_b32 exec_lo, exec_lo, s1
	v_mul_u32_u24_e32 v0, 10, v28
	s_waitcnt lgkmcnt(0)
	s_barrier
	buffer_gl0_inv
	v_add_nc_u32_e32 v4, 0x800, v33
	v_lshlrev_b32_e32 v0, 3, v0
	s_clause 0x4
	global_load_dwordx4 v[9:12], v0, s[12:13] offset:352
	global_load_dwordx4 v[29:32], v0, s[12:13] offset:368
	;; [unrolled: 1-line block ×5, first 2 shown]
	ds_read2_b64 v[0:3], v33 offset1:48
	ds_read2_b64 v[46:49], v33 offset0:96 offset1:144
	ds_read2_b64 v[50:53], v33 offset0:192 offset1:240
	;; [unrolled: 1-line block ×4, first 2 shown]
	ds_read_b64 v[62:63], v33 offset:3840
	s_waitcnt vmcnt(0) lgkmcnt(0)
	s_barrier
	buffer_gl0_inv
	v_mul_f32_e32 v21, v10, v3
	v_mul_f32_e32 v14, v10, v2
	;; [unrolled: 1-line block ×16, first 2 shown]
	v_fmac_f32_e32 v21, v9, v2
	v_fma_f32 v41, v9, v3, -v14
	v_mul_f32_e32 v8, v57, v39
	v_mul_f32_e32 v32, v56, v39
	;; [unrolled: 1-line block ×3, first 2 shown]
	v_fmac_f32_e32 v20, v11, v46
	v_fma_f32 v22, v11, v47, -v15
	v_fma_f32 v18, v29, v49, -v16
	v_fmac_f32_e32 v13, v31, v50
	v_fma_f32 v16, v31, v51, -v19
	v_fma_f32 v14, v55, v36, -v30
	v_fmac_f32_e32 v6, v60, v42
	v_fma_f32 v3, v61, v42, -v37
	v_add_f32_e32 v30, v21, v0
	v_add_f32_e32 v31, v41, v1
	v_mul_f32_e32 v5, v63, v45
	v_fma_f32 v2, v63, v44, -v39
	v_fmac_f32_e32 v17, v29, v48
	v_fma_f32 v15, v34, v53, -v23
	v_fmac_f32_e32 v10, v54, v36
	v_fmac_f32_e32 v7, v58, v40
	v_fma_f32 v9, v59, v40, -v35
	v_add_f32_e32 v29, v20, v6
	v_add_f32_e32 v35, v22, v3
	v_sub_f32_e32 v23, v20, v6
	v_sub_f32_e32 v36, v22, v3
	v_add_f32_e32 v20, v30, v20
	v_add_f32_e32 v22, v31, v22
	v_fmac_f32_e32 v12, v34, v52
	v_fma_f32 v11, v57, v38, -v32
	v_fmac_f32_e32 v5, v62, v44
	v_add_f32_e32 v32, v41, v2
	v_sub_f32_e32 v34, v41, v2
	v_fmac_f32_e32 v8, v56, v38
	v_sub_f32_e32 v37, v18, v9
	v_add_f32_e32 v38, v17, v7
	v_add_f32_e32 v39, v18, v9
	v_sub_f32_e32 v40, v17, v7
	v_add_f32_e32 v18, v22, v18
	v_add_f32_e32 v17, v20, v17
	v_add_f32_e32 v19, v21, v5
	v_sub_f32_e32 v21, v21, v5
	v_sub_f32_e32 v41, v16, v11
	v_add_f32_e32 v43, v16, v11
	v_sub_f32_e32 v45, v15, v14
	v_add_f32_e32 v47, v15, v14
	v_mul_f32_e32 v30, 0xbf0a6770, v34
	v_mul_f32_e32 v31, 0x3f575c64, v32
	;; [unrolled: 1-line block ×10, first 2 shown]
	v_add_f32_e32 v42, v13, v8
	v_sub_f32_e32 v44, v13, v8
	v_add_f32_e32 v13, v17, v13
	v_add_f32_e32 v16, v18, v16
	;; [unrolled: 1-line block ×3, first 2 shown]
	v_sub_f32_e32 v48, v12, v10
	v_mul_f32_e32 v55, 0xbf68dda4, v36
	v_mul_f32_e32 v56, 0x3ed4b147, v35
	;; [unrolled: 1-line block ×40, first 2 shown]
	v_fmamk_f32 v87, v19, 0x3f575c64, v30
	v_fmamk_f32 v88, v21, 0x3f0a6770, v31
	v_fma_f32 v30, 0x3f575c64, v19, -v30
	v_fmac_f32_e32 v31, 0xbf0a6770, v21
	v_fmamk_f32 v89, v19, 0x3ed4b147, v49
	v_fmamk_f32 v90, v21, 0x3f68dda4, v50
	v_fma_f32 v49, 0x3ed4b147, v19, -v49
	v_fmac_f32_e32 v50, 0xbf68dda4, v21
	;; [unrolled: 4-line block ×5, first 2 shown]
	v_add_f32_e32 v12, v13, v12
	v_add_f32_e32 v13, v16, v15
	v_fmamk_f32 v21, v29, 0x3ed4b147, v55
	v_fmamk_f32 v34, v23, 0x3f68dda4, v56
	v_fma_f32 v55, 0x3ed4b147, v29, -v55
	v_fmac_f32_e32 v56, 0xbf68dda4, v23
	v_fmamk_f32 v97, v29, 0xbf27a4f4, v57
	v_fma_f32 v57, 0xbf27a4f4, v29, -v57
	v_fmamk_f32 v98, v29, 0xbf75a155, v59
	v_fma_f32 v59, 0xbf75a155, v29, -v59
	;; [unrolled: 2-line block ×4, first 2 shown]
	v_fmamk_f32 v36, v23, 0x3f4178ce, v58
	v_fmac_f32_e32 v58, 0xbf4178ce, v23
	v_fmamk_f32 v101, v23, 0xbe903f40, v60
	v_fmac_f32_e32 v60, 0x3e903f40, v23
	v_fmamk_f32 v102, v23, 0xbf7d64f0, v62
	v_fmac_f32_e32 v62, 0x3f7d64f0, v23
	v_fmamk_f32 v103, v23, 0xbf0a6770, v35
	v_fmac_f32_e32 v35, 0x3f0a6770, v23
	v_fmamk_f32 v23, v38, 0xbe11bafb, v63
	v_fma_f32 v63, 0xbe11bafb, v38, -v63
	v_fmamk_f32 v104, v38, 0xbf75a155, v64
	v_fma_f32 v64, 0xbf75a155, v38, -v64
	v_fmamk_f32 v105, v38, 0x3ed4b147, v65
	v_fma_f32 v65, 0x3ed4b147, v38, -v65
	v_fmamk_f32 v106, v38, 0x3f575c64, v66
	v_fma_f32 v66, 0x3f575c64, v38, -v66
	v_fmamk_f32 v107, v38, 0xbf27a4f4, v37
	v_fma_f32 v37, 0xbf27a4f4, v38, -v37
	v_fmamk_f32 v20, v40, 0x3f7d64f0, v67
	v_fmac_f32_e32 v67, 0xbf7d64f0, v40
	v_fmamk_f32 v22, v40, 0xbe903f40, v68
	v_fmac_f32_e32 v68, 0x3e903f40, v40
	v_fmamk_f32 v38, v40, 0xbf68dda4, v69
	v_fmac_f32_e32 v69, 0x3f68dda4, v40
	v_fmamk_f32 v108, v40, 0x3f0a6770, v70
	v_fmac_f32_e32 v70, 0xbf0a6770, v40
	v_fmamk_f32 v109, v40, 0x3f4178ce, v39
	v_fmac_f32_e32 v39, 0xbf4178ce, v40
	v_fmamk_f32 v40, v42, 0xbf27a4f4, v71
	v_fma_f32 v71, 0xbf27a4f4, v42, -v71
	v_fmamk_f32 v110, v42, 0xbe11bafb, v72
	v_fma_f32 v72, 0xbe11bafb, v42, -v72
	v_fmamk_f32 v111, v42, 0x3f575c64, v73
	v_fma_f32 v73, 0x3f575c64, v42, -v73
	v_fmamk_f32 v112, v42, 0xbf75a155, v74
	v_fma_f32 v74, 0xbf75a155, v42, -v74
	v_fmamk_f32 v113, v42, 0x3ed4b147, v41
	v_fma_f32 v41, 0x3ed4b147, v42, -v41
	v_fmamk_f32 v42, v44, 0x3f4178ce, v75
	v_fmac_f32_e32 v75, 0xbf4178ce, v44
	;; [unrolled: 20-line block ×3, first 2 shown]
	v_fmamk_f32 v122, v48, 0xbf0a6770, v84
	v_fmac_f32_e32 v84, 0x3f0a6770, v48
	v_fmamk_f32 v123, v48, 0x3f4178ce, v85
	v_fmac_f32_e32 v85, 0xbf4178ce, v48
	;; [unrolled: 2-line block ×4, first 2 shown]
	v_add_f32_e32 v48, v87, v0
	v_add_f32_e32 v87, v88, v1
	;; [unrolled: 1-line block ×110, first 2 shown]
	ds_write2_b64 v33, v[9:10], v[13:14] offset0:96 offset1:144
	ds_write2_b64 v33, v[17:18], v[21:22] offset0:192 offset1:240
	;; [unrolled: 1-line block ×4, first 2 shown]
	ds_write_b64 v33, v[7:8] offset:3840
	ds_write2_b64 v33, v[5:6], v[0:1] offset1:48
	s_waitcnt lgkmcnt(0)
	s_barrier
	buffer_gl0_inv
	s_and_saveexec_b32 s0, vcc_lo
	s_cbranch_execz .LBB0_33
; %bb.32:
	v_mul_lo_u32 v0, s3, v26
	v_mul_lo_u32 v1, s2, v27
	v_mad_u64_u32 v[4:5], null, s2, v26, 0
	v_lshl_add_u32 v18, v28, 3, 0
	v_mov_b32_e32 v29, 0
	v_lshlrev_b64 v[8:9], 3, v[24:25]
	v_add_nc_u32_e32 v10, 48, v28
	v_add_nc_u32_e32 v12, 0x60, v28
	v_add3_u32 v5, v5, v1, v0
	ds_read2_b64 v[0:3], v18 offset1:48
	v_mov_b32_e32 v11, v29
	v_lshlrev_b64 v[16:17], 3, v[28:29]
	v_mov_b32_e32 v13, v29
	v_lshlrev_b64 v[14:15], 3, v[4:5]
	ds_read2_b64 v[4:7], v18 offset0:96 offset1:144
	v_lshlrev_b64 v[10:11], 3, v[10:11]
	v_add_co_u32 v14, vcc_lo, s10, v14
	v_add_co_ci_u32_e32 v15, vcc_lo, s11, v15, vcc_lo
	v_add_co_u32 v20, vcc_lo, v14, v8
	v_add_co_ci_u32_e32 v21, vcc_lo, v15, v9, vcc_lo
	v_lshlrev_b64 v[8:9], 3, v[12:13]
	v_add_co_u32 v12, vcc_lo, v20, v16
	v_add_co_ci_u32_e32 v13, vcc_lo, v21, v17, vcc_lo
	v_add_co_u32 v10, vcc_lo, v20, v10
	v_add_co_ci_u32_e32 v11, vcc_lo, v21, v11, vcc_lo
	s_waitcnt lgkmcnt(1)
	global_store_dwordx2 v[12:13], v[0:1], off
	v_add_co_u32 v0, vcc_lo, v20, v8
	v_add_co_ci_u32_e32 v1, vcc_lo, v21, v9, vcc_lo
	v_add_nc_u32_e32 v8, 0x90, v28
	v_mov_b32_e32 v9, v29
	global_store_dwordx2 v[10:11], v[2:3], off
	s_waitcnt lgkmcnt(0)
	global_store_dwordx2 v[0:1], v[4:5], off
	v_add_nc_u32_e32 v12, 0xc0, v28
	v_mov_b32_e32 v13, v29
	ds_read2_b64 v[0:3], v18 offset0:192 offset1:240
	v_lshlrev_b64 v[4:5], 3, v[8:9]
	v_add_nc_u32_e32 v10, 0xf0, v28
	v_mov_b32_e32 v11, v29
	v_lshlrev_b64 v[8:9], 3, v[12:13]
	v_add_nc_u32_e32 v12, 0x120, v28
	v_add_nc_u32_e32 v14, 0x800, v18
	v_add_co_u32 v4, vcc_lo, v20, v4
	v_lshlrev_b64 v[10:11], 3, v[10:11]
	v_add_co_ci_u32_e32 v5, vcc_lo, v21, v5, vcc_lo
	v_add_co_u32 v8, vcc_lo, v20, v8
	v_add_co_ci_u32_e32 v9, vcc_lo, v21, v9, vcc_lo
	v_add_co_u32 v10, vcc_lo, v20, v10
	v_add_co_ci_u32_e32 v11, vcc_lo, v21, v11, vcc_lo
	global_store_dwordx2 v[4:5], v[6:7], off
	s_waitcnt lgkmcnt(0)
	global_store_dwordx2 v[8:9], v[0:1], off
	global_store_dwordx2 v[10:11], v[2:3], off
	v_lshlrev_b64 v[4:5], 3, v[12:13]
	v_add_nc_u32_e32 v6, 0x150, v28
	v_mov_b32_e32 v7, v29
	ds_read2_b64 v[0:3], v14 offset0:32 offset1:80
	v_add_nc_u32_e32 v8, 0x180, v28
	v_mov_b32_e32 v9, v29
	v_add_co_u32 v10, vcc_lo, v20, v4
	v_add_co_ci_u32_e32 v11, vcc_lo, v21, v5, vcc_lo
	v_lshlrev_b64 v[12:13], 3, v[6:7]
	ds_read2_b64 v[4:7], v14 offset0:128 offset1:176
	v_add_nc_u32_e32 v14, 0x1b0, v28
	v_mov_b32_e32 v15, v29
	ds_read_b64 v[16:17], v18 offset:3840
	v_lshlrev_b64 v[8:9], 3, v[8:9]
	v_add_nc_u32_e32 v28, 0x1e0, v28
	v_add_co_u32 v12, vcc_lo, v20, v12
	v_lshlrev_b64 v[14:15], 3, v[14:15]
	v_add_co_ci_u32_e32 v13, vcc_lo, v21, v13, vcc_lo
	v_add_co_u32 v8, vcc_lo, v20, v8
	v_lshlrev_b64 v[18:19], 3, v[28:29]
	v_add_co_ci_u32_e32 v9, vcc_lo, v21, v9, vcc_lo
	v_add_co_u32 v14, vcc_lo, v20, v14
	v_add_co_ci_u32_e32 v15, vcc_lo, v21, v15, vcc_lo
	v_add_co_u32 v18, vcc_lo, v20, v18
	v_add_co_ci_u32_e32 v19, vcc_lo, v21, v19, vcc_lo
	s_waitcnt lgkmcnt(2)
	global_store_dwordx2 v[10:11], v[0:1], off
	global_store_dwordx2 v[12:13], v[2:3], off
	s_waitcnt lgkmcnt(1)
	global_store_dwordx2 v[8:9], v[4:5], off
	global_store_dwordx2 v[14:15], v[6:7], off
	s_waitcnt lgkmcnt(0)
	global_store_dwordx2 v[18:19], v[16:17], off
.LBB0_33:
	s_endpgm
	.section	.rodata,"a",@progbits
	.p2align	6, 0x0
	.amdhsa_kernel fft_rtc_back_len528_factors_4_4_3_11_wgs_48_tpt_48_halfLds_sp_op_CI_CI_unitstride_sbrr_C2R_dirReg
		.amdhsa_group_segment_fixed_size 0
		.amdhsa_private_segment_fixed_size 0
		.amdhsa_kernarg_size 104
		.amdhsa_user_sgpr_count 6
		.amdhsa_user_sgpr_private_segment_buffer 1
		.amdhsa_user_sgpr_dispatch_ptr 0
		.amdhsa_user_sgpr_queue_ptr 0
		.amdhsa_user_sgpr_kernarg_segment_ptr 1
		.amdhsa_user_sgpr_dispatch_id 0
		.amdhsa_user_sgpr_flat_scratch_init 0
		.amdhsa_user_sgpr_private_segment_size 0
		.amdhsa_wavefront_size32 1
		.amdhsa_uses_dynamic_stack 0
		.amdhsa_system_sgpr_private_segment_wavefront_offset 0
		.amdhsa_system_sgpr_workgroup_id_x 1
		.amdhsa_system_sgpr_workgroup_id_y 0
		.amdhsa_system_sgpr_workgroup_id_z 0
		.amdhsa_system_sgpr_workgroup_info 0
		.amdhsa_system_vgpr_workitem_id 0
		.amdhsa_next_free_vgpr 126
		.amdhsa_next_free_sgpr 27
		.amdhsa_reserve_vcc 1
		.amdhsa_reserve_flat_scratch 0
		.amdhsa_float_round_mode_32 0
		.amdhsa_float_round_mode_16_64 0
		.amdhsa_float_denorm_mode_32 3
		.amdhsa_float_denorm_mode_16_64 3
		.amdhsa_dx10_clamp 1
		.amdhsa_ieee_mode 1
		.amdhsa_fp16_overflow 0
		.amdhsa_workgroup_processor_mode 1
		.amdhsa_memory_ordered 1
		.amdhsa_forward_progress 0
		.amdhsa_shared_vgpr_count 0
		.amdhsa_exception_fp_ieee_invalid_op 0
		.amdhsa_exception_fp_denorm_src 0
		.amdhsa_exception_fp_ieee_div_zero 0
		.amdhsa_exception_fp_ieee_overflow 0
		.amdhsa_exception_fp_ieee_underflow 0
		.amdhsa_exception_fp_ieee_inexact 0
		.amdhsa_exception_int_div_zero 0
	.end_amdhsa_kernel
	.text
.Lfunc_end0:
	.size	fft_rtc_back_len528_factors_4_4_3_11_wgs_48_tpt_48_halfLds_sp_op_CI_CI_unitstride_sbrr_C2R_dirReg, .Lfunc_end0-fft_rtc_back_len528_factors_4_4_3_11_wgs_48_tpt_48_halfLds_sp_op_CI_CI_unitstride_sbrr_C2R_dirReg
                                        ; -- End function
	.section	.AMDGPU.csdata,"",@progbits
; Kernel info:
; codeLenInByte = 7380
; NumSgprs: 29
; NumVgprs: 126
; ScratchSize: 0
; MemoryBound: 0
; FloatMode: 240
; IeeeMode: 1
; LDSByteSize: 0 bytes/workgroup (compile time only)
; SGPRBlocks: 3
; VGPRBlocks: 15
; NumSGPRsForWavesPerEU: 29
; NumVGPRsForWavesPerEU: 126
; Occupancy: 8
; WaveLimiterHint : 1
; COMPUTE_PGM_RSRC2:SCRATCH_EN: 0
; COMPUTE_PGM_RSRC2:USER_SGPR: 6
; COMPUTE_PGM_RSRC2:TRAP_HANDLER: 0
; COMPUTE_PGM_RSRC2:TGID_X_EN: 1
; COMPUTE_PGM_RSRC2:TGID_Y_EN: 0
; COMPUTE_PGM_RSRC2:TGID_Z_EN: 0
; COMPUTE_PGM_RSRC2:TIDIG_COMP_CNT: 0
	.text
	.p2alignl 6, 3214868480
	.fill 48, 4, 3214868480
	.type	__hip_cuid_d99542751f699922,@object ; @__hip_cuid_d99542751f699922
	.section	.bss,"aw",@nobits
	.globl	__hip_cuid_d99542751f699922
__hip_cuid_d99542751f699922:
	.byte	0                               ; 0x0
	.size	__hip_cuid_d99542751f699922, 1

	.ident	"AMD clang version 19.0.0git (https://github.com/RadeonOpenCompute/llvm-project roc-6.4.0 25133 c7fe45cf4b819c5991fe208aaa96edf142730f1d)"
	.section	".note.GNU-stack","",@progbits
	.addrsig
	.addrsig_sym __hip_cuid_d99542751f699922
	.amdgpu_metadata
---
amdhsa.kernels:
  - .args:
      - .actual_access:  read_only
        .address_space:  global
        .offset:         0
        .size:           8
        .value_kind:     global_buffer
      - .offset:         8
        .size:           8
        .value_kind:     by_value
      - .actual_access:  read_only
        .address_space:  global
        .offset:         16
        .size:           8
        .value_kind:     global_buffer
      - .actual_access:  read_only
        .address_space:  global
        .offset:         24
        .size:           8
        .value_kind:     global_buffer
      - .actual_access:  read_only
        .address_space:  global
        .offset:         32
        .size:           8
        .value_kind:     global_buffer
      - .offset:         40
        .size:           8
        .value_kind:     by_value
      - .actual_access:  read_only
        .address_space:  global
        .offset:         48
        .size:           8
        .value_kind:     global_buffer
      - .actual_access:  read_only
        .address_space:  global
        .offset:         56
        .size:           8
        .value_kind:     global_buffer
      - .offset:         64
        .size:           4
        .value_kind:     by_value
      - .actual_access:  read_only
        .address_space:  global
        .offset:         72
        .size:           8
        .value_kind:     global_buffer
      - .actual_access:  read_only
        .address_space:  global
        .offset:         80
        .size:           8
        .value_kind:     global_buffer
      - .actual_access:  read_only
        .address_space:  global
        .offset:         88
        .size:           8
        .value_kind:     global_buffer
      - .actual_access:  write_only
        .address_space:  global
        .offset:         96
        .size:           8
        .value_kind:     global_buffer
    .group_segment_fixed_size: 0
    .kernarg_segment_align: 8
    .kernarg_segment_size: 104
    .language:       OpenCL C
    .language_version:
      - 2
      - 0
    .max_flat_workgroup_size: 48
    .name:           fft_rtc_back_len528_factors_4_4_3_11_wgs_48_tpt_48_halfLds_sp_op_CI_CI_unitstride_sbrr_C2R_dirReg
    .private_segment_fixed_size: 0
    .sgpr_count:     29
    .sgpr_spill_count: 0
    .symbol:         fft_rtc_back_len528_factors_4_4_3_11_wgs_48_tpt_48_halfLds_sp_op_CI_CI_unitstride_sbrr_C2R_dirReg.kd
    .uniform_work_group_size: 1
    .uses_dynamic_stack: false
    .vgpr_count:     126
    .vgpr_spill_count: 0
    .wavefront_size: 32
    .workgroup_processor_mode: 1
amdhsa.target:   amdgcn-amd-amdhsa--gfx1030
amdhsa.version:
  - 1
  - 2
...

	.end_amdgpu_metadata
